;; amdgpu-corpus repo=ROCm/rocFFT kind=compiled arch=gfx1201 opt=O3
	.text
	.amdgcn_target "amdgcn-amd-amdhsa--gfx1201"
	.amdhsa_code_object_version 6
	.protected	fft_rtc_back_len660_factors_11_6_10_wgs_110_tpt_110_halfLds_dp_op_CI_CI_sbrr_dirReg ; -- Begin function fft_rtc_back_len660_factors_11_6_10_wgs_110_tpt_110_halfLds_dp_op_CI_CI_sbrr_dirReg
	.globl	fft_rtc_back_len660_factors_11_6_10_wgs_110_tpt_110_halfLds_dp_op_CI_CI_sbrr_dirReg
	.p2align	8
	.type	fft_rtc_back_len660_factors_11_6_10_wgs_110_tpt_110_halfLds_dp_op_CI_CI_sbrr_dirReg,@function
fft_rtc_back_len660_factors_11_6_10_wgs_110_tpt_110_halfLds_dp_op_CI_CI_sbrr_dirReg: ; @fft_rtc_back_len660_factors_11_6_10_wgs_110_tpt_110_halfLds_dp_op_CI_CI_sbrr_dirReg
; %bb.0:
	s_clause 0x2
	s_load_b128 s[12:15], s[0:1], 0x18
	s_load_b128 s[8:11], s[0:1], 0x0
	;; [unrolled: 1-line block ×3, first 2 shown]
	v_mul_u32_u24_e32 v1, 0x254, v0
	v_mov_b32_e32 v3, 0
	s_wait_kmcnt 0x0
	s_load_b64 s[18:19], s[12:13], 0x0
	s_load_b64 s[16:17], s[14:15], 0x0
	v_lshrrev_b32_e32 v1, 16, v1
	v_cmp_lt_u64_e64 s2, s[10:11], 2
	s_delay_alu instid0(VALU_DEP_2)
	v_add_nc_u32_e32 v5, ttmp9, v1
	v_mov_b32_e32 v1, 0
	v_mov_b32_e32 v2, 0
	;; [unrolled: 1-line block ×3, first 2 shown]
	s_and_b32 vcc_lo, exec_lo, s2
	s_cbranch_vccnz .LBB0_8
; %bb.1:
	s_load_b64 s[2:3], s[0:1], 0x10
	v_mov_b32_e32 v1, 0
	v_mov_b32_e32 v2, 0
	s_add_nc_u64 s[20:21], s[14:15], 8
	s_add_nc_u64 s[22:23], s[12:13], 8
	s_mov_b64 s[24:25], 1
	s_delay_alu instid0(VALU_DEP_1)
	v_dual_mov_b32 v71, v2 :: v_dual_mov_b32 v70, v1
	s_wait_kmcnt 0x0
	s_add_nc_u64 s[26:27], s[2:3], 8
	s_mov_b32 s3, 0
.LBB0_2:                                ; =>This Inner Loop Header: Depth=1
	s_load_b64 s[28:29], s[26:27], 0x0
                                        ; implicit-def: $vgpr72_vgpr73
	s_mov_b32 s2, exec_lo
	s_wait_kmcnt 0x0
	v_or_b32_e32 v4, s29, v6
	s_delay_alu instid0(VALU_DEP_1)
	v_cmpx_ne_u64_e32 0, v[3:4]
	s_wait_alu 0xfffe
	s_xor_b32 s30, exec_lo, s2
	s_cbranch_execz .LBB0_4
; %bb.3:                                ;   in Loop: Header=BB0_2 Depth=1
	s_cvt_f32_u32 s2, s28
	s_cvt_f32_u32 s31, s29
	s_sub_nc_u64 s[36:37], 0, s[28:29]
	s_wait_alu 0xfffe
	s_delay_alu instid0(SALU_CYCLE_1) | instskip(SKIP_1) | instid1(SALU_CYCLE_2)
	s_fmamk_f32 s2, s31, 0x4f800000, s2
	s_wait_alu 0xfffe
	v_s_rcp_f32 s2, s2
	s_delay_alu instid0(TRANS32_DEP_1) | instskip(SKIP_1) | instid1(SALU_CYCLE_2)
	s_mul_f32 s2, s2, 0x5f7ffffc
	s_wait_alu 0xfffe
	s_mul_f32 s31, s2, 0x2f800000
	s_wait_alu 0xfffe
	s_delay_alu instid0(SALU_CYCLE_2) | instskip(SKIP_1) | instid1(SALU_CYCLE_2)
	s_trunc_f32 s31, s31
	s_wait_alu 0xfffe
	s_fmamk_f32 s2, s31, 0xcf800000, s2
	s_cvt_u32_f32 s35, s31
	s_wait_alu 0xfffe
	s_delay_alu instid0(SALU_CYCLE_1) | instskip(SKIP_1) | instid1(SALU_CYCLE_2)
	s_cvt_u32_f32 s34, s2
	s_wait_alu 0xfffe
	s_mul_u64 s[38:39], s[36:37], s[34:35]
	s_wait_alu 0xfffe
	s_mul_hi_u32 s41, s34, s39
	s_mul_i32 s40, s34, s39
	s_mul_hi_u32 s2, s34, s38
	s_mul_i32 s33, s35, s38
	s_wait_alu 0xfffe
	s_add_nc_u64 s[40:41], s[2:3], s[40:41]
	s_mul_hi_u32 s31, s35, s38
	s_mul_hi_u32 s42, s35, s39
	s_add_co_u32 s2, s40, s33
	s_wait_alu 0xfffe
	s_add_co_ci_u32 s2, s41, s31
	s_mul_i32 s38, s35, s39
	s_add_co_ci_u32 s39, s42, 0
	s_wait_alu 0xfffe
	s_add_nc_u64 s[38:39], s[2:3], s[38:39]
	s_wait_alu 0xfffe
	v_add_co_u32 v4, s2, s34, s38
	s_delay_alu instid0(VALU_DEP_1) | instskip(SKIP_1) | instid1(VALU_DEP_1)
	s_cmp_lg_u32 s2, 0
	s_add_co_ci_u32 s35, s35, s39
	v_readfirstlane_b32 s34, v4
	s_wait_alu 0xfffe
	s_delay_alu instid0(VALU_DEP_1)
	s_mul_u64 s[36:37], s[36:37], s[34:35]
	s_wait_alu 0xfffe
	s_mul_hi_u32 s39, s34, s37
	s_mul_i32 s38, s34, s37
	s_mul_hi_u32 s2, s34, s36
	s_mul_i32 s33, s35, s36
	s_wait_alu 0xfffe
	s_add_nc_u64 s[38:39], s[2:3], s[38:39]
	s_mul_hi_u32 s31, s35, s36
	s_mul_hi_u32 s34, s35, s37
	s_wait_alu 0xfffe
	s_add_co_u32 s2, s38, s33
	s_add_co_ci_u32 s2, s39, s31
	s_mul_i32 s36, s35, s37
	s_add_co_ci_u32 s37, s34, 0
	s_wait_alu 0xfffe
	s_add_nc_u64 s[36:37], s[2:3], s[36:37]
	s_wait_alu 0xfffe
	v_add_co_u32 v4, s2, v4, s36
	s_delay_alu instid0(VALU_DEP_1) | instskip(SKIP_1) | instid1(VALU_DEP_1)
	s_cmp_lg_u32 s2, 0
	s_add_co_ci_u32 s2, s35, s37
	v_mul_hi_u32 v13, v5, v4
	s_wait_alu 0xfffe
	v_mad_co_u64_u32 v[7:8], null, v5, s2, 0
	v_mad_co_u64_u32 v[9:10], null, v6, v4, 0
	;; [unrolled: 1-line block ×3, first 2 shown]
	s_delay_alu instid0(VALU_DEP_3) | instskip(SKIP_1) | instid1(VALU_DEP_4)
	v_add_co_u32 v4, vcc_lo, v13, v7
	s_wait_alu 0xfffd
	v_add_co_ci_u32_e32 v7, vcc_lo, 0, v8, vcc_lo
	s_delay_alu instid0(VALU_DEP_2) | instskip(SKIP_1) | instid1(VALU_DEP_2)
	v_add_co_u32 v4, vcc_lo, v4, v9
	s_wait_alu 0xfffd
	v_add_co_ci_u32_e32 v4, vcc_lo, v7, v10, vcc_lo
	s_wait_alu 0xfffd
	v_add_co_ci_u32_e32 v7, vcc_lo, 0, v12, vcc_lo
	s_delay_alu instid0(VALU_DEP_2) | instskip(SKIP_1) | instid1(VALU_DEP_2)
	v_add_co_u32 v4, vcc_lo, v4, v11
	s_wait_alu 0xfffd
	v_add_co_ci_u32_e32 v9, vcc_lo, 0, v7, vcc_lo
	s_delay_alu instid0(VALU_DEP_2) | instskip(SKIP_1) | instid1(VALU_DEP_3)
	v_mul_lo_u32 v10, s29, v4
	v_mad_co_u64_u32 v[7:8], null, s28, v4, 0
	v_mul_lo_u32 v11, s28, v9
	s_delay_alu instid0(VALU_DEP_2) | instskip(NEXT) | instid1(VALU_DEP_2)
	v_sub_co_u32 v7, vcc_lo, v5, v7
	v_add3_u32 v8, v8, v11, v10
	s_delay_alu instid0(VALU_DEP_1) | instskip(SKIP_1) | instid1(VALU_DEP_1)
	v_sub_nc_u32_e32 v10, v6, v8
	s_wait_alu 0xfffd
	v_subrev_co_ci_u32_e64 v10, s2, s29, v10, vcc_lo
	v_add_co_u32 v11, s2, v4, 2
	s_wait_alu 0xf1ff
	v_add_co_ci_u32_e64 v12, s2, 0, v9, s2
	v_sub_co_u32 v13, s2, v7, s28
	v_sub_co_ci_u32_e32 v8, vcc_lo, v6, v8, vcc_lo
	s_wait_alu 0xf1ff
	v_subrev_co_ci_u32_e64 v10, s2, 0, v10, s2
	s_delay_alu instid0(VALU_DEP_3) | instskip(NEXT) | instid1(VALU_DEP_3)
	v_cmp_le_u32_e32 vcc_lo, s28, v13
	v_cmp_eq_u32_e64 s2, s29, v8
	s_wait_alu 0xfffd
	v_cndmask_b32_e64 v13, 0, -1, vcc_lo
	v_cmp_le_u32_e32 vcc_lo, s29, v10
	s_wait_alu 0xfffd
	v_cndmask_b32_e64 v14, 0, -1, vcc_lo
	v_cmp_le_u32_e32 vcc_lo, s28, v7
	;; [unrolled: 3-line block ×3, first 2 shown]
	s_wait_alu 0xfffd
	v_cndmask_b32_e64 v15, 0, -1, vcc_lo
	v_cmp_eq_u32_e32 vcc_lo, s29, v10
	s_wait_alu 0xf1ff
	s_delay_alu instid0(VALU_DEP_2)
	v_cndmask_b32_e64 v7, v15, v7, s2
	s_wait_alu 0xfffd
	v_cndmask_b32_e32 v10, v14, v13, vcc_lo
	v_add_co_u32 v13, vcc_lo, v4, 1
	s_wait_alu 0xfffd
	v_add_co_ci_u32_e32 v14, vcc_lo, 0, v9, vcc_lo
	s_delay_alu instid0(VALU_DEP_3) | instskip(SKIP_1) | instid1(VALU_DEP_2)
	v_cmp_ne_u32_e32 vcc_lo, 0, v10
	s_wait_alu 0xfffd
	v_cndmask_b32_e32 v8, v14, v12, vcc_lo
	v_cndmask_b32_e32 v10, v13, v11, vcc_lo
	v_cmp_ne_u32_e32 vcc_lo, 0, v7
	s_wait_alu 0xfffd
	s_delay_alu instid0(VALU_DEP_2)
	v_dual_cndmask_b32 v73, v9, v8 :: v_dual_cndmask_b32 v72, v4, v10
.LBB0_4:                                ;   in Loop: Header=BB0_2 Depth=1
	s_wait_alu 0xfffe
	s_and_not1_saveexec_b32 s2, s30
	s_cbranch_execz .LBB0_6
; %bb.5:                                ;   in Loop: Header=BB0_2 Depth=1
	v_cvt_f32_u32_e32 v4, s28
	s_sub_co_i32 s30, 0, s28
	v_mov_b32_e32 v73, v3
	s_delay_alu instid0(VALU_DEP_2) | instskip(NEXT) | instid1(TRANS32_DEP_1)
	v_rcp_iflag_f32_e32 v4, v4
	v_mul_f32_e32 v4, 0x4f7ffffe, v4
	s_delay_alu instid0(VALU_DEP_1) | instskip(SKIP_1) | instid1(VALU_DEP_1)
	v_cvt_u32_f32_e32 v4, v4
	s_wait_alu 0xfffe
	v_mul_lo_u32 v7, s30, v4
	s_delay_alu instid0(VALU_DEP_1) | instskip(NEXT) | instid1(VALU_DEP_1)
	v_mul_hi_u32 v7, v4, v7
	v_add_nc_u32_e32 v4, v4, v7
	s_delay_alu instid0(VALU_DEP_1) | instskip(NEXT) | instid1(VALU_DEP_1)
	v_mul_hi_u32 v4, v5, v4
	v_mul_lo_u32 v7, v4, s28
	v_add_nc_u32_e32 v8, 1, v4
	s_delay_alu instid0(VALU_DEP_2) | instskip(NEXT) | instid1(VALU_DEP_1)
	v_sub_nc_u32_e32 v7, v5, v7
	v_subrev_nc_u32_e32 v9, s28, v7
	v_cmp_le_u32_e32 vcc_lo, s28, v7
	s_wait_alu 0xfffd
	s_delay_alu instid0(VALU_DEP_2) | instskip(NEXT) | instid1(VALU_DEP_1)
	v_dual_cndmask_b32 v7, v7, v9 :: v_dual_cndmask_b32 v4, v4, v8
	v_cmp_le_u32_e32 vcc_lo, s28, v7
	s_delay_alu instid0(VALU_DEP_2) | instskip(SKIP_1) | instid1(VALU_DEP_1)
	v_add_nc_u32_e32 v8, 1, v4
	s_wait_alu 0xfffd
	v_cndmask_b32_e32 v72, v4, v8, vcc_lo
.LBB0_6:                                ;   in Loop: Header=BB0_2 Depth=1
	s_wait_alu 0xfffe
	s_or_b32 exec_lo, exec_lo, s2
	v_mul_lo_u32 v4, v73, s28
	s_delay_alu instid0(VALU_DEP_2)
	v_mul_lo_u32 v9, v72, s29
	s_load_b64 s[30:31], s[22:23], 0x0
	v_mad_co_u64_u32 v[7:8], null, v72, s28, 0
	s_load_b64 s[28:29], s[20:21], 0x0
	s_add_nc_u64 s[24:25], s[24:25], 1
	s_add_nc_u64 s[20:21], s[20:21], 8
	s_wait_alu 0xfffe
	v_cmp_ge_u64_e64 s2, s[24:25], s[10:11]
	s_add_nc_u64 s[22:23], s[22:23], 8
	s_add_nc_u64 s[26:27], s[26:27], 8
	v_add3_u32 v4, v8, v9, v4
	v_sub_co_u32 v5, vcc_lo, v5, v7
	s_wait_alu 0xfffd
	s_delay_alu instid0(VALU_DEP_2) | instskip(SKIP_2) | instid1(VALU_DEP_1)
	v_sub_co_ci_u32_e32 v4, vcc_lo, v6, v4, vcc_lo
	s_and_b32 vcc_lo, exec_lo, s2
	s_wait_kmcnt 0x0
	v_mul_lo_u32 v6, s30, v4
	v_mul_lo_u32 v7, s31, v5
	v_mad_co_u64_u32 v[1:2], null, s30, v5, v[1:2]
	v_mul_lo_u32 v4, s28, v4
	v_mul_lo_u32 v8, s29, v5
	v_mad_co_u64_u32 v[70:71], null, s28, v5, v[70:71]
	s_delay_alu instid0(VALU_DEP_4) | instskip(NEXT) | instid1(VALU_DEP_2)
	v_add3_u32 v2, v7, v2, v6
	v_add3_u32 v71, v8, v71, v4
	s_wait_alu 0xfffe
	s_cbranch_vccnz .LBB0_9
; %bb.7:                                ;   in Loop: Header=BB0_2 Depth=1
	v_dual_mov_b32 v5, v72 :: v_dual_mov_b32 v6, v73
	s_branch .LBB0_2
.LBB0_8:
	s_delay_alu instid0(VALU_DEP_2) | instskip(NEXT) | instid1(VALU_DEP_2)
	v_dual_mov_b32 v71, v2 :: v_dual_mov_b32 v70, v1
	v_dual_mov_b32 v73, v6 :: v_dual_mov_b32 v72, v5
.LBB0_9:
	s_load_b64 s[0:1], s[0:1], 0x28
	v_mul_hi_u32 v3, 0x253c826, v0
	s_lshl_b64 s[2:3], s[10:11], 3
                                        ; implicit-def: $vgpr20_vgpr21
                                        ; implicit-def: $vgpr24_vgpr25
                                        ; implicit-def: $vgpr28_vgpr29
                                        ; implicit-def: $vgpr36_vgpr37
                                        ; implicit-def: $vgpr48_vgpr49
                                        ; implicit-def: $vgpr52_vgpr53
                                        ; implicit-def: $vgpr56_vgpr57
                                        ; implicit-def: $vgpr40_vgpr41
                                        ; implicit-def: $vgpr44_vgpr45
                                        ; implicit-def: $vgpr32_vgpr33
                                        ; implicit-def: $vgpr10_vgpr11
	s_delay_alu instid0(VALU_DEP_1) | instskip(NEXT) | instid1(VALU_DEP_1)
	v_mul_u32_u24_e32 v3, 0x6e, v3
	v_sub_nc_u32_e32 v116, v0, v3
	s_wait_kmcnt 0x0
	v_cmp_gt_u64_e32 vcc_lo, s[0:1], v[72:73]
	s_delay_alu instid0(VALU_DEP_2) | instskip(NEXT) | instid1(VALU_DEP_1)
	v_cmp_gt_u32_e64 s0, 60, v116
	s_and_b32 s1, vcc_lo, s0
	s_wait_alu 0xfffe
	s_and_saveexec_b32 s20, s1
	s_cbranch_execz .LBB0_11
; %bb.10:
	s_add_nc_u64 s[10:11], s[12:13], s[2:3]
	v_mad_co_u64_u32 v[3:4], null, s18, v116, 0
	s_load_b64 s[10:11], s[10:11], 0x0
	v_add_nc_u32_e32 v11, 60, v116
	v_add_nc_u32_e32 v20, 0x78, v116
	;; [unrolled: 1-line block ×3, first 2 shown]
	s_delay_alu instid0(VALU_DEP_4) | instskip(NEXT) | instid1(VALU_DEP_4)
	v_mov_b32_e32 v0, v4
	v_mad_co_u64_u32 v[5:6], null, s18, v11, 0
	s_delay_alu instid0(VALU_DEP_4) | instskip(NEXT) | instid1(VALU_DEP_3)
	v_mad_co_u64_u32 v[12:13], null, s18, v20, 0
	v_mad_co_u64_u32 v[9:10], null, s19, v116, v[0:1]
	v_add_nc_u32_e32 v21, 0xb4, v116
	v_lshlrev_b64_e32 v[0:1], 4, v[1:2]
	v_mov_b32_e32 v2, v6
	v_mad_co_u64_u32 v[16:17], null, s18, v22, 0
	v_mov_b32_e32 v6, v13
	v_mad_co_u64_u32 v[14:15], null, s18, v21, 0
	s_wait_kmcnt 0x0
	v_mul_lo_u32 v4, s11, v72
	v_mul_lo_u32 v18, s10, v73
	v_mad_co_u64_u32 v[7:8], null, s10, v72, 0
	s_delay_alu instid0(VALU_DEP_4) | instskip(NEXT) | instid1(VALU_DEP_2)
	v_mov_b32_e32 v10, v15
	v_add3_u32 v8, v8, v18, v4
	v_mad_co_u64_u32 v[18:19], null, s19, v11, v[2:3]
	v_mov_b32_e32 v4, v9
	s_delay_alu instid0(VALU_DEP_3) | instskip(NEXT) | instid1(VALU_DEP_2)
	v_lshlrev_b64_e32 v[7:8], 4, v[7:8]
	v_lshlrev_b64_e32 v[2:3], 4, v[3:4]
	s_delay_alu instid0(VALU_DEP_2) | instskip(SKIP_2) | instid1(VALU_DEP_4)
	v_mad_co_u64_u32 v[19:20], null, s19, v20, v[6:7]
	v_add_co_u32 v4, s1, s4, v7
	s_wait_alu 0xf1ff
	v_add_co_ci_u32_e64 v7, s1, s5, v8, s1
	v_mov_b32_e32 v6, v18
	s_delay_alu instid0(VALU_DEP_3) | instskip(SKIP_1) | instid1(VALU_DEP_3)
	v_add_co_u32 v23, s1, v4, v0
	s_wait_alu 0xf1ff
	v_add_co_ci_u32_e64 v24, s1, v7, v1, s1
	v_mov_b32_e32 v13, v19
	v_add_nc_u32_e32 v19, 0x1a4, v116
	v_lshlrev_b64_e32 v[0:1], 4, v[5:6]
	v_add_co_u32 v2, s1, v23, v2
	s_wait_alu 0xf1ff
	v_add_co_ci_u32_e64 v3, s1, v24, v3, s1
	v_mad_co_u64_u32 v[4:5], null, s19, v21, v[10:11]
	s_delay_alu instid0(VALU_DEP_4)
	v_add_co_u32 v0, s1, v23, v0
	s_wait_alu 0xf1ff
	v_add_co_ci_u32_e64 v1, s1, v24, v1, s1
	s_clause 0x1
	global_load_b128 v[8:11], v[2:3], off
	global_load_b128 v[30:33], v[0:1], off
	v_dual_mov_b32 v7, v17 :: v_dual_add_nc_u32 v18, 0x12c, v116
	v_mov_b32_e32 v15, v4
	v_lshlrev_b64_e32 v[0:1], 4, v[12:13]
	v_add_nc_u32_e32 v20, 0x1e0, v116
	s_delay_alu instid0(VALU_DEP_4) | instskip(SKIP_1) | instid1(VALU_DEP_4)
	v_mad_co_u64_u32 v[5:6], null, s18, v18, 0
	v_add_nc_u32_e32 v21, 0x21c, v116
	v_add_co_u32 v0, s1, v23, v0
	s_wait_alu 0xf1ff
	v_add_co_ci_u32_e64 v1, s1, v24, v1, s1
	s_wait_loadcnt 0x1
	v_mad_co_u64_u32 v[2:3], null, s19, v22, v[7:8]
	v_mov_b32_e32 v3, v6
	v_lshlrev_b64_e32 v[6:7], 4, v[14:15]
	s_delay_alu instid0(VALU_DEP_3) | instskip(NEXT) | instid1(VALU_DEP_3)
	v_dual_mov_b32 v17, v2 :: v_dual_add_nc_u32 v22, 0x258, v116
	v_mad_co_u64_u32 v[2:3], null, s19, v18, v[3:4]
	s_delay_alu instid0(VALU_DEP_3) | instskip(NEXT) | instid1(VALU_DEP_3)
	v_add_co_u32 v3, s1, v23, v6
	v_lshlrev_b64_e32 v[12:13], 4, v[16:17]
	s_wait_alu 0xf1ff
	v_add_co_ci_u32_e64 v4, s1, v24, v7, s1
	s_clause 0x1
	global_load_b128 v[42:45], v[0:1], off
	global_load_b128 v[38:41], v[3:4], off
	v_add_co_u32 v0, s1, v23, v12
	s_wait_alu 0xf1ff
	v_add_co_ci_u32_e64 v1, s1, v24, v13, s1
	v_mad_co_u64_u32 v[12:13], null, s18, v20, 0
	v_add_nc_u32_e32 v18, 0x168, v116
	v_mov_b32_e32 v6, v2
	v_mad_co_u64_u32 v[16:17], null, s18, v21, 0
	s_delay_alu instid0(VALU_DEP_3) | instskip(NEXT) | instid1(VALU_DEP_3)
	v_mad_co_u64_u32 v[14:15], null, s18, v18, 0
	v_lshlrev_b64_e32 v[3:4], 4, v[5:6]
	s_delay_alu instid0(VALU_DEP_2) | instskip(NEXT) | instid1(VALU_DEP_1)
	v_mov_b32_e32 v2, v15
	v_mad_co_u64_u32 v[5:6], null, s19, v18, v[2:3]
	v_mad_co_u64_u32 v[6:7], null, s18, v19, 0
	v_add_co_u32 v2, s1, v23, v3
	s_wait_alu 0xf1ff
	v_add_co_ci_u32_e64 v3, s1, v24, v4, s1
	s_delay_alu instid0(VALU_DEP_4) | instskip(NEXT) | instid1(VALU_DEP_4)
	v_mov_b32_e32 v15, v5
	v_dual_mov_b32 v5, v13 :: v_dual_mov_b32 v4, v7
	s_clause 0x1
	global_load_b128 v[54:57], v[0:1], off
	global_load_b128 v[50:53], v[2:3], off
	v_mov_b32_e32 v0, v17
	v_lshlrev_b64_e32 v[1:2], 4, v[14:15]
	v_mad_co_u64_u32 v[18:19], null, s19, v19, v[4:5]
	v_mad_co_u64_u32 v[4:5], null, s19, v20, v[5:6]
	;; [unrolled: 1-line block ×3, first 2 shown]
	s_delay_alu instid0(VALU_DEP_3) | instskip(NEXT) | instid1(VALU_DEP_3)
	v_mov_b32_e32 v7, v18
	v_mov_b32_e32 v13, v4
	v_mad_co_u64_u32 v[3:4], null, s19, v21, v[0:1]
	s_delay_alu instid0(VALU_DEP_4)
	v_mov_b32_e32 v0, v20
	v_add_co_u32 v1, s1, v23, v1
	v_lshlrev_b64_e32 v[4:5], 4, v[6:7]
	v_lshlrev_b64_e32 v[12:13], 4, v[12:13]
	s_wait_alu 0xf1ff
	v_add_co_ci_u32_e64 v2, s1, v24, v2, s1
	v_mov_b32_e32 v17, v3
	v_mad_co_u64_u32 v[6:7], null, s19, v22, v[0:1]
	v_add_co_u32 v3, s1, v23, v4
	s_wait_alu 0xf1ff
	v_add_co_ci_u32_e64 v4, s1, v24, v5, s1
	v_lshlrev_b64_e32 v[14:15], 4, v[16:17]
	v_add_co_u32 v5, s1, v23, v12
	v_mov_b32_e32 v20, v6
	s_wait_alu 0xf1ff
	v_add_co_ci_u32_e64 v6, s1, v24, v13, s1
	s_delay_alu instid0(VALU_DEP_4) | instskip(NEXT) | instid1(VALU_DEP_3)
	v_add_co_u32 v14, s1, v23, v14
	v_lshlrev_b64_e32 v[12:13], 4, v[19:20]
	s_wait_alu 0xf1ff
	v_add_co_ci_u32_e64 v15, s1, v24, v15, s1
	s_delay_alu instid0(VALU_DEP_2) | instskip(SKIP_1) | instid1(VALU_DEP_3)
	v_add_co_u32 v12, s1, v23, v12
	s_wait_alu 0xf1ff
	v_add_co_ci_u32_e64 v13, s1, v24, v13, s1
	s_clause 0x4
	global_load_b128 v[46:49], v[1:2], off
	global_load_b128 v[34:37], v[3:4], off
	global_load_b128 v[26:29], v[5:6], off
	global_load_b128 v[22:25], v[14:15], off
	global_load_b128 v[18:21], v[12:13], off
.LBB0_11:
	s_or_b32 exec_lo, exec_lo, s20
	s_wait_loadcnt 0x0
	v_add_f64_e64 v[12:13], v[32:33], -v[20:21]
	s_mov_b32 s28, 0x8eee2c13
	s_mov_b32 s22, 0x43842ef
	;; [unrolled: 1-line block ×8, first 2 shown]
	v_add_f64_e32 v[14:15], v[18:19], v[30:31]
	v_add_f64_e64 v[16:17], v[44:45], -v[24:25]
	s_mov_b32 s4, 0xd9c712b6
	s_mov_b32 s10, 0x640f44db
	;; [unrolled: 1-line block ×14, first 2 shown]
	v_add_f64_e32 v[86:87], v[22:23], v[42:43]
	v_add_f64_e64 v[62:63], v[40:41], -v[28:29]
	s_mov_b32 s18, 0x8764f0ba
	s_mov_b32 s37, 0x3fed1bb4
	;; [unrolled: 1-line block ×4, first 2 shown]
	s_wait_alu 0xfffe
	s_mov_b32 s36, s28
	s_mov_b32 s38, s30
	v_add_f64_e32 v[104:105], v[26:27], v[38:39]
	v_add_f64_e64 v[64:65], v[56:57], -v[36:37]
	v_add_f64_e32 v[112:113], v[34:35], v[54:55]
	v_add_f64_e64 v[66:67], v[52:53], -v[48:49]
	v_add_f64_e32 v[114:115], v[46:47], v[50:51]
	v_mul_f64_e32 v[58:59], s[28:29], v[12:13]
	v_mul_f64_e32 v[60:61], s[22:23], v[12:13]
	;; [unrolled: 1-line block ×9, first 2 shown]
	s_wait_alu 0xfffe
	v_mul_f64_e32 v[88:89], s[36:37], v[62:63]
	v_mul_f64_e32 v[92:93], s[38:39], v[62:63]
	;; [unrolled: 1-line block ×7, first 2 shown]
	v_fma_f64 v[0:1], v[14:15], s[4:5], -v[58:59]
	v_fma_f64 v[2:3], v[14:15], s[10:11], -v[60:61]
	;; [unrolled: 1-line block ×16, first 2 shown]
	v_add_f64_e32 v[0:1], v[8:9], v[0:1]
	v_add_f64_e32 v[2:3], v[8:9], v[2:3]
	;; [unrolled: 1-line block ×4, first 2 shown]
	s_delay_alu instid0(VALU_DEP_4) | instskip(NEXT) | instid1(VALU_DEP_4)
	v_add_f64_e32 v[0:1], v[96:97], v[0:1]
	v_add_f64_e32 v[2:3], v[100:101], v[2:3]
	s_delay_alu instid0(VALU_DEP_4) | instskip(NEXT) | instid1(VALU_DEP_4)
	v_add_f64_e32 v[4:5], v[108:109], v[4:5]
	v_add_f64_e32 v[6:7], v[110:111], v[6:7]
	v_mul_f64_e32 v[96:97], s[30:31], v[66:67]
	v_mul_f64_e32 v[100:101], s[24:25], v[66:67]
	;; [unrolled: 1-line block ×4, first 2 shown]
	v_add_f64_e32 v[0:1], v[117:118], v[0:1]
	v_add_f64_e32 v[2:3], v[119:120], v[2:3]
	;; [unrolled: 1-line block ×4, first 2 shown]
	v_fma_f64 v[117:118], v[114:115], s[18:19], -v[96:97]
	v_fma_f64 v[119:120], v[114:115], s[12:13], -v[100:101]
	;; [unrolled: 1-line block ×4, first 2 shown]
	v_add_f64_e32 v[0:1], v[125:126], v[0:1]
	v_add_f64_e32 v[2:3], v[127:128], v[2:3]
	;; [unrolled: 1-line block ×4, first 2 shown]
	s_delay_alu instid0(VALU_DEP_4) | instskip(NEXT) | instid1(VALU_DEP_4)
	v_add_f64_e32 v[6:7], v[117:118], v[0:1]
	v_add_f64_e32 v[4:5], v[119:120], v[2:3]
	s_delay_alu instid0(VALU_DEP_4) | instskip(NEXT) | instid1(VALU_DEP_4)
	v_add_f64_e32 v[2:3], v[121:122], v[125:126]
	v_add_f64_e32 v[0:1], v[123:124], v[127:128]
	s_and_saveexec_b32 s1, s0
	s_cbranch_execz .LBB0_13
; %bb.12:
	v_add_f64_e32 v[117:118], v[30:31], v[8:9]
	v_mul_f64_e32 v[119:120], s[20:21], v[14:15]
	v_mul_f64_e32 v[121:122], s[12:13], v[14:15]
	;; [unrolled: 1-line block ×10, first 2 shown]
	s_mov_b32 s43, 0x3fe82f19
	s_mov_b32 s42, s24
	v_add_f64_e32 v[117:118], v[42:43], v[117:118]
	v_add_f64_e32 v[78:79], v[78:79], v[119:120]
	;; [unrolled: 1-line block ×4, first 2 shown]
	v_fma_f64 v[119:120], v[12:13], s[38:39], v[125:126]
	v_add_f64_e32 v[14:15], v[58:59], v[14:15]
	v_fma_f64 v[12:13], v[12:13], s[30:31], v[125:126]
	v_mul_f64_e32 v[123:124], s[18:19], v[104:105]
	v_mul_f64_e32 v[125:126], s[12:13], v[104:105]
	v_add_f64_e32 v[94:95], v[94:95], v[127:128]
	v_add_f64_e32 v[80:81], v[80:81], v[129:130]
	v_mul_f64_e32 v[58:59], s[20:21], v[104:105]
	v_mul_f64_e32 v[121:122], s[4:5], v[104:105]
	;; [unrolled: 1-line block ×3, first 2 shown]
	v_add_f64_e32 v[76:77], v[76:77], v[131:132]
	v_fma_f64 v[127:128], v[16:17], s[28:29], v[86:87]
	v_add_f64_e32 v[74:75], v[74:75], v[133:134]
	v_fma_f64 v[16:17], v[16:17], s[36:37], v[86:87]
	v_mul_f64_e32 v[129:130], s[20:21], v[112:113]
	v_mul_f64_e32 v[131:132], s[4:5], v[112:113]
	;; [unrolled: 1-line block ×3, first 2 shown]
	v_add_f64_e32 v[117:118], v[38:39], v[117:118]
	v_add_f64_e32 v[78:79], v[8:9], v[78:79]
	;; [unrolled: 1-line block ×9, first 2 shown]
	v_mul_f64_e32 v[12:13], s[10:11], v[112:113]
	v_mul_f64_e32 v[112:113], s[12:13], v[112:113]
	v_add_f64_e32 v[58:59], v[82:83], v[58:59]
	v_add_f64_e32 v[88:89], v[88:89], v[121:122]
	v_fma_f64 v[82:83], v[62:63], s[22:23], v[104:105]
	v_fma_f64 v[62:63], v[62:63], s[34:35], v[104:105]
	v_mul_f64_e32 v[104:105], s[10:11], v[114:115]
	v_add_f64_e32 v[98:99], v[98:99], v[129:130]
	v_add_f64_e32 v[106:107], v[106:107], v[131:132]
	;; [unrolled: 1-line block ×10, first 2 shown]
	v_mul_f64_e32 v[94:95], s[4:5], v[114:115]
	v_mul_f64_e32 v[16:17], s[18:19], v[114:115]
	v_mul_f64_e32 v[74:75], s[12:13], v[114:115]
	v_mul_f64_e32 v[114:115], s[20:21], v[114:115]
	v_add_f64_e32 v[12:13], v[84:85], v[12:13]
	v_fma_f64 v[84:85], v[64:65], s[24:25], v[112:113]
	v_add_f64_e32 v[117:118], v[50:51], v[117:118]
	v_add_f64_e32 v[78:79], v[102:103], v[78:79]
	;; [unrolled: 1-line block ×6, first 2 shown]
	v_fma_f64 v[58:59], v[64:65], s[42:43], v[112:113]
	v_add_f64_e32 v[8:9], v[62:63], v[8:9]
	v_add_f64_e32 v[62:63], v[110:111], v[104:105]
	;; [unrolled: 1-line block ×3, first 2 shown]
	v_fma_f64 v[82:83], v[66:67], s[26:27], v[114:115]
	v_add_f64_e32 v[74:75], v[100:101], v[74:75]
	v_add_f64_e32 v[16:17], v[96:97], v[16:17]
	v_add_f64_e32 v[117:118], v[46:47], v[117:118]
	v_add_f64_e32 v[78:79], v[106:107], v[78:79]
	v_add_f64_e32 v[68:69], v[98:99], v[68:69]
	v_add_f64_e32 v[60:61], v[86:87], v[60:61]
	v_add_f64_e32 v[76:77], v[84:85], v[76:77]
	v_add_f64_e32 v[12:13], v[12:13], v[14:15]
	v_fma_f64 v[14:15], v[66:67], s[40:41], v[114:115]
	v_add_f64_e32 v[8:9], v[58:59], v[8:9]
	v_add_f64_e32 v[80:81], v[34:35], v[117:118]
	;; [unrolled: 1-line block ×8, first 2 shown]
	v_mad_u32_u24 v14, 0x58, v116, 0
	v_add_f64_e32 v[80:81], v[26:27], v[80:81]
	s_delay_alu instid0(VALU_DEP_1) | instskip(NEXT) | instid1(VALU_DEP_1)
	v_add_f64_e32 v[80:81], v[22:23], v[80:81]
	v_add_f64_e32 v[66:67], v[18:19], v[80:81]
	ds_store_2addr_b64 v14, v[62:63], v[58:59] offset0:4 offset1:5
	ds_store_2addr_b64 v14, v[0:1], v[2:3] offset0:6 offset1:7
	ds_store_2addr_b64 v14, v[66:67], v[64:65] offset1:1
	ds_store_2addr_b64 v14, v[12:13], v[60:61] offset0:2 offset1:3
	ds_store_2addr_b64 v14, v[4:5], v[6:7] offset0:8 offset1:9
	ds_store_b64 v14, v[8:9] offset:80
.LBB0_13:
	s_wait_alu 0xfffe
	s_or_b32 exec_lo, exec_lo, s1
	v_add_f64_e64 v[112:113], v[30:31], -v[18:19]
	v_add_f64_e64 v[104:105], v[42:43], -v[22:23]
	v_add_f64_e32 v[100:101], v[20:21], v[32:33]
	v_add_f64_e64 v[90:91], v[38:39], -v[26:27]
	v_add_f64_e32 v[88:89], v[24:25], v[44:45]
	v_add_f64_e32 v[38:39], v[28:29], v[40:41]
	v_add_f64_e64 v[86:87], v[54:55], -v[34:35]
	v_add_f64_e32 v[22:23], v[36:37], v[56:57]
	v_add_f64_e64 v[76:77], v[50:51], -v[46:47]
	global_wb scope:SCOPE_SE
	s_wait_dscnt 0x0
	s_barrier_signal -1
	s_barrier_wait -1
	global_inv scope:SCOPE_SE
	s_add_nc_u64 s[2:3], s[14:15], s[2:3]
	v_mul_f64_e32 v[106:107], s[28:29], v[112:113]
	v_mul_f64_e32 v[102:103], s[22:23], v[112:113]
	;; [unrolled: 1-line block ×17, first 2 shown]
	v_fma_f64 v[8:9], v[100:101], s[4:5], v[106:107]
	v_fma_f64 v[12:13], v[100:101], s[10:11], v[102:103]
	;; [unrolled: 1-line block ×16, first 2 shown]
	v_add_f64_e32 v[8:9], v[10:11], v[8:9]
	v_add_f64_e32 v[12:13], v[10:11], v[12:13]
	;; [unrolled: 1-line block ×4, first 2 shown]
	s_delay_alu instid0(VALU_DEP_4) | instskip(NEXT) | instid1(VALU_DEP_4)
	v_add_f64_e32 v[18:19], v[18:19], v[8:9]
	v_add_f64_e32 v[12:13], v[26:27], v[12:13]
	s_delay_alu instid0(VALU_DEP_4) | instskip(NEXT) | instid1(VALU_DEP_4)
	v_add_f64_e32 v[14:15], v[30:31], v[14:15]
	v_add_f64_e32 v[16:17], v[34:35], v[16:17]
	;; [unrolled: 1-line block ×3, first 2 shown]
	v_mul_f64_e32 v[34:35], s[24:25], v[76:77]
	v_mul_f64_e32 v[30:31], s[36:37], v[76:77]
	;; [unrolled: 1-line block ×3, first 2 shown]
	v_add_f64_e32 v[18:19], v[58:59], v[18:19]
	v_add_f64_e32 v[12:13], v[60:61], v[12:13]
	;; [unrolled: 1-line block ×4, first 2 shown]
	v_fma_f64 v[58:59], v[8:9], s[18:19], v[42:43]
	v_fma_f64 v[60:61], v[8:9], s[12:13], v[34:35]
	;; [unrolled: 1-line block ×4, first 2 shown]
	v_add_f64_e32 v[18:19], v[66:67], v[18:19]
	v_add_f64_e32 v[12:13], v[68:69], v[12:13]
	;; [unrolled: 1-line block ×4, first 2 shown]
	v_lshl_add_u32 v114, v116, 3, 0
	s_delay_alu instid0(VALU_DEP_1)
	v_add_nc_u32_e32 v115, 0x400, v114
	v_add_nc_u32_e32 v117, 0xc00, v114
	v_add_f64_e32 v[14:15], v[58:59], v[18:19]
	v_add_f64_e32 v[12:13], v[60:61], v[12:13]
	;; [unrolled: 1-line block ×4, first 2 shown]
	ds_load_2addr_b64 v[58:61], v114 offset1:110
	ds_load_2addr_b64 v[62:65], v115 offset0:92 offset1:202
	ds_load_2addr_b64 v[66:69], v117 offset0:56 offset1:166
	global_wb scope:SCOPE_SE
	s_wait_dscnt 0x0
	s_barrier_signal -1
	s_barrier_wait -1
	global_inv scope:SCOPE_SE
	s_and_saveexec_b32 s1, s0
	s_cbranch_execz .LBB0_15
; %bb.14:
	v_add_f64_e32 v[32:33], v[32:33], v[10:11]
	s_mov_b32 s14, 0xf8bb580b
	s_mov_b32 s15, 0xbfe14ced
	v_mul_f64_e32 v[118:119], s[20:21], v[100:101]
	v_mul_f64_e32 v[112:113], s[14:15], v[112:113]
	s_mov_b32 s14, 0x8eee2c13
	s_mov_b32 s22, 0x8764f0ba
	v_mul_f64_e32 v[120:121], s[12:13], v[88:89]
	v_mul_f64_e32 v[124:125], s[10:11], v[88:89]
	;; [unrolled: 1-line block ×3, first 2 shown]
	s_mov_b32 s15, 0xbfed1bb4
	s_mov_b32 s23, 0x3feaeb8c
	s_wait_alu 0xfffe
	v_mul_f64_e32 v[104:105], s[14:15], v[104:105]
	v_mul_f64_e32 v[122:123], s[20:21], v[88:89]
	s_mov_b32 s14, 0x43842ef
	s_mov_b32 s15, 0xbfefac9e
	s_wait_alu 0xfffe
	v_mul_f64_e32 v[90:91], s[14:15], v[90:91]
	s_mov_b32 s14, 0xbb3a28a1
	s_mov_b32 s15, 0xbfe82f19
	s_wait_alu 0xfffe
	v_mul_f64_e32 v[86:87], s[14:15], v[86:87]
	v_add_f64_e32 v[32:33], v[44:45], v[32:33]
	v_mul_f64_e32 v[44:45], s[12:13], v[100:101]
	v_add_f64_e64 v[92:93], v[120:121], -v[92:93]
	v_add_f64_e64 v[96:97], v[124:125], -v[96:97]
	;; [unrolled: 1-line block ×3, first 2 shown]
	v_mul_f64_e32 v[120:121], s[4:5], v[22:23]
	v_add_f64_e64 v[94:95], v[122:123], -v[94:95]
	v_add_f64_e32 v[32:33], v[40:41], v[32:33]
	v_mul_f64_e32 v[40:41], s[4:5], v[100:101]
	v_add_f64_e64 v[44:45], v[44:45], -v[108:109]
	v_fma_f64 v[108:109], v[100:101], s[22:23], -v[112:113]
	s_delay_alu instid0(VALU_DEP_4)
	v_add_f64_e32 v[32:33], v[56:57], v[32:33]
	v_mul_f64_e32 v[56:57], s[10:11], v[100:101]
	v_add_f64_e64 v[40:41], v[40:41], -v[106:107]
	v_add_f64_e64 v[106:107], v[118:119], -v[110:111]
	v_mul_f64_e32 v[110:111], s[18:19], v[38:39]
	v_add_f64_e32 v[44:45], v[10:11], v[44:45]
	v_add_f64_e32 v[108:109], v[10:11], v[108:109]
	v_add_f64_e32 v[32:33], v[52:53], v[32:33]
	v_add_f64_e64 v[52:53], v[56:57], -v[102:103]
	v_fma_f64 v[56:57], v[100:101], s[22:23], v[112:113]
	s_mov_b32 s22, 0xd9c712b6
	v_mul_f64_e32 v[100:101], s[20:21], v[38:39]
	v_mul_f64_e32 v[112:113], s[12:13], v[38:39]
	s_mov_b32 s23, 0x3fda9628
	v_add_f64_e32 v[40:41], v[10:11], v[40:41]
	v_add_f64_e32 v[106:107], v[10:11], v[106:107]
	s_wait_alu 0xfffe
	v_fma_f64 v[118:119], v[88:89], s[22:23], -v[104:105]
	v_mul_f64_e32 v[102:103], s[4:5], v[38:39]
	v_add_f64_e64 v[82:83], v[110:111], -v[82:83]
	v_add_f64_e32 v[44:45], v[96:97], v[44:45]
	v_add_f64_e32 v[32:33], v[48:49], v[32:33]
	;; [unrolled: 1-line block ×3, first 2 shown]
	v_fma_f64 v[52:53], v[88:89], s[22:23], v[104:105]
	v_add_f64_e32 v[10:11], v[10:11], v[56:57]
	v_mul_f64_e32 v[104:105], s[20:21], v[22:23]
	s_mov_b32 s20, 0x640f44db
	v_mul_f64_e32 v[56:57], s[10:11], v[22:23]
	s_mov_b32 s21, 0xbfc2375f
	v_add_f64_e64 v[78:79], v[100:101], -v[78:79]
	v_add_f64_e64 v[84:85], v[112:113], -v[84:85]
	v_add_f64_e32 v[40:41], v[92:93], v[40:41]
	v_add_f64_e32 v[92:93], v[98:99], v[106:107]
	s_wait_alu 0xfffe
	v_fma_f64 v[100:101], v[38:39], s[20:21], -v[90:91]
	v_add_f64_e32 v[96:97], v[118:119], v[108:109]
	v_mul_f64_e32 v[88:89], s[18:19], v[22:23]
	v_add_f64_e64 v[80:81], v[102:103], -v[80:81]
	v_fma_f64 v[38:39], v[38:39], s[20:21], v[90:91]
	v_mul_f64_e32 v[90:91], s[4:5], v[8:9]
	s_mov_b32 s4, 0xfd768dbf
	s_mov_b32 s5, 0xbfd207e7
	v_add_f64_e32 v[44:45], v[82:83], v[44:45]
	s_wait_alu 0xfffe
	v_mul_f64_e32 v[76:77], s[4:5], v[76:77]
	s_mov_b32 s4, 0x9bcd5057
	s_mov_b32 s5, 0xbfeeb42a
	v_add_f64_e32 v[32:33], v[36:37], v[32:33]
	v_add_f64_e32 v[36:37], v[94:95], v[48:49]
	v_mul_f64_e32 v[94:95], s[10:11], v[8:9]
	v_add_f64_e32 v[10:11], v[52:53], v[10:11]
	s_mov_b32 s10, 0x7f775887
	v_mul_f64_e32 v[48:49], s[18:19], v[8:9]
	s_mov_b32 s11, 0xbfe4f49e
	v_add_f64_e64 v[46:47], v[56:57], -v[46:47]
	v_add_f64_e64 v[54:55], v[104:105], -v[54:55]
	;; [unrolled: 1-line block ×3, first 2 shown]
	v_add_f64_e32 v[40:41], v[78:79], v[40:41]
	v_add_f64_e32 v[78:79], v[84:85], v[92:93]
	s_wait_alu 0xfffe
	v_fma_f64 v[74:75], v[22:23], s[10:11], -v[86:87]
	v_add_f64_e32 v[82:83], v[100:101], v[96:97]
	v_mul_f64_e32 v[52:53], s[12:13], v[8:9]
	v_add_f64_e64 v[50:51], v[88:89], -v[50:51]
	v_fma_f64 v[22:23], v[22:23], s[10:11], v[86:87]
	v_add_f64_e64 v[30:31], v[90:91], -v[30:31]
	v_add_f64_e32 v[28:29], v[28:29], v[32:33]
	v_add_f64_e32 v[32:33], v[80:81], v[36:37]
	v_add_f64_e64 v[26:27], v[94:95], -v[26:27]
	v_add_f64_e32 v[10:11], v[38:39], v[10:11]
	v_fma_f64 v[38:39], v[8:9], s[4:5], -v[76:77]
	v_add_f64_e64 v[36:37], v[48:49], -v[42:43]
	v_fma_f64 v[8:9], v[8:9], s[4:5], v[76:77]
	v_add_f64_e32 v[42:43], v[54:55], v[44:45]
	v_add_f64_e32 v[40:41], v[46:47], v[40:41]
	;; [unrolled: 1-line block ×4, first 2 shown]
	v_add_f64_e64 v[34:35], v[52:53], -v[34:35]
	v_add_f64_e32 v[24:25], v[24:25], v[28:29]
	v_add_f64_e32 v[28:29], v[50:51], v[32:33]
	;; [unrolled: 1-line block ×10, first 2 shown]
	v_mad_u32_u24 v10, 0x50, v116, v114
	ds_store_2addr_b64 v10, v[30:31], v[26:27] offset0:4 offset1:5
	ds_store_2addr_b64 v10, v[16:17], v[18:19] offset0:6 offset1:7
	ds_store_2addr_b64 v10, v[20:21], v[32:33] offset1:1
	ds_store_2addr_b64 v10, v[22:23], v[24:25] offset0:2 offset1:3
	ds_store_2addr_b64 v10, v[12:13], v[14:15] offset0:8 offset1:9
	ds_store_b64 v10, v[8:9] offset:80
.LBB0_15:
	s_wait_alu 0xfffe
	s_or_b32 exec_lo, exec_lo, s1
	v_and_b32_e32 v8, 0xff, v116
	s_load_b64 s[2:3], s[2:3], 0x0
	global_wb scope:SCOPE_SE
	s_wait_dscnt 0x0
	s_wait_kmcnt 0x0
	s_barrier_signal -1
	s_barrier_wait -1
	v_mul_lo_u16 v8, 0x75, v8
	global_inv scope:SCOPE_SE
	s_mov_b32 s4, 0xe8584caa
	s_mov_b32 s5, 0xbfebb67a
	;; [unrolled: 1-line block ×3, first 2 shown]
	v_lshrrev_b16 v8, 8, v8
	s_wait_alu 0xfffe
	s_mov_b32 s10, s4
	v_cmp_gt_u32_e64 s0, 0x42, v116
	s_delay_alu instid0(VALU_DEP_2) | instskip(NEXT) | instid1(VALU_DEP_1)
	v_sub_nc_u16 v9, v116, v8
	v_lshrrev_b16 v9, 1, v9
	s_delay_alu instid0(VALU_DEP_1) | instskip(NEXT) | instid1(VALU_DEP_1)
	v_and_b32_e32 v9, 0x7f, v9
	v_add_nc_u16 v8, v9, v8
	s_delay_alu instid0(VALU_DEP_1) | instskip(NEXT) | instid1(VALU_DEP_1)
	v_lshrrev_b16 v56, 3, v8
	v_mul_lo_u16 v8, v56, 11
	s_delay_alu instid0(VALU_DEP_1) | instskip(NEXT) | instid1(VALU_DEP_1)
	v_sub_nc_u16 v8, v116, v8
	v_and_b32_e32 v57, 0xff, v8
	s_delay_alu instid0(VALU_DEP_1) | instskip(NEXT) | instid1(VALU_DEP_1)
	v_mul_u32_u24_e32 v8, 5, v57
	v_lshlrev_b32_e32 v20, 4, v8
	s_clause 0x4
	global_load_b128 v[8:11], v20, s[8:9] offset:32
	global_load_b128 v[24:27], v20, s[8:9] offset:64
	global_load_b128 v[28:31], v20, s[8:9]
	global_load_b128 v[38:41], v20, s[8:9] offset:16
	global_load_b128 v[42:45], v20, s[8:9] offset:48
	ds_load_2addr_b64 v[46:49], v115 offset0:92 offset1:202
	ds_load_2addr_b64 v[52:55], v117 offset0:56 offset1:166
	s_wait_loadcnt 0x4
	v_mul_f64_e32 v[20:21], v[64:65], v[10:11]
	s_wait_loadcnt 0x3
	v_mul_f64_e32 v[22:23], v[68:69], v[26:27]
	;; [unrolled: 2-line block ×3, first 2 shown]
	s_wait_dscnt 0x1
	v_mul_f64_e32 v[10:11], v[48:49], v[10:11]
	s_wait_dscnt 0x0
	v_mul_f64_e32 v[26:27], v[54:55], v[26:27]
	s_wait_loadcnt 0x0
	v_mul_f64_e32 v[50:51], v[52:53], v[44:45]
	v_mul_f64_e32 v[44:45], v[66:67], v[44:45]
	v_fma_f64 v[34:35], v[48:49], v[8:9], -v[20:21]
	v_fma_f64 v[32:33], v[54:55], v[24:25], -v[22:23]
	ds_load_2addr_b64 v[20:23], v114 offset1:110
	v_mul_f64_e32 v[48:49], v[46:47], v[40:41]
	v_fma_f64 v[8:9], v[64:65], v[8:9], v[10:11]
	v_fma_f64 v[10:11], v[68:69], v[24:25], v[26:27]
	v_mul_f64_e32 v[26:27], v[62:63], v[40:41]
	v_fma_f64 v[40:41], v[66:67], v[42:43], v[50:51]
	global_wb scope:SCOPE_SE
	s_wait_dscnt 0x0
	s_barrier_signal -1
	s_barrier_wait -1
	global_inv scope:SCOPE_SE
	v_mul_f64_e32 v[30:31], v[22:23], v[30:31]
	v_fma_f64 v[22:23], v[22:23], v[28:29], -v[36:37]
	v_add_f64_e32 v[24:25], v[34:35], v[32:33]
	v_fma_f64 v[36:37], v[62:63], v[38:39], v[48:49]
	v_add_f64_e64 v[54:55], v[8:9], -v[10:11]
	v_fma_f64 v[50:51], v[46:47], v[38:39], -v[26:27]
	v_fma_f64 v[38:39], v[52:53], v[42:43], -v[44:45]
	v_add_f64_e64 v[46:47], v[34:35], -v[32:33]
	v_fma_f64 v[28:29], v[60:61], v[28:29], v[30:31]
	v_add_f64_e32 v[30:31], v[8:9], v[10:11]
	v_fma_f64 v[24:25], v[24:25], -0.5, v[22:23]
	v_add_f64_e32 v[26:27], v[36:37], v[40:41]
	v_add_f64_e64 v[52:53], v[50:51], -v[38:39]
	v_add_f64_e32 v[8:9], v[28:29], v[8:9]
	v_fma_f64 v[30:31], v[30:31], -0.5, v[28:29]
	s_wait_alu 0xfffe
	v_fma_f64 v[48:49], v[54:55], s[10:11], v[24:25]
	v_fma_f64 v[42:43], v[54:55], s[4:5], v[24:25]
	v_add_f64_e32 v[24:25], v[58:59], v[36:37]
	v_fma_f64 v[26:27], v[26:27], -0.5, v[58:59]
	v_add_f64_e32 v[10:11], v[8:9], v[10:11]
	v_fma_f64 v[44:45], v[46:47], s[4:5], v[30:31]
	v_fma_f64 v[46:47], v[46:47], s[10:11], v[30:31]
	v_mul_f64_e32 v[28:29], s[4:5], v[48:49]
	v_mul_f64_e32 v[30:31], s[4:5], v[42:43]
	v_add_f64_e32 v[24:25], v[24:25], v[40:41]
	v_fma_f64 v[54:55], v[52:53], s[4:5], v[26:27]
	v_fma_f64 v[52:53], v[52:53], s[10:11], v[26:27]
	v_fma_f64 v[28:29], v[44:45], 0.5, v[28:29]
	v_fma_f64 v[30:31], v[46:47], -0.5, v[30:31]
	v_add_f64_e32 v[8:9], v[24:25], v[10:11]
	v_add_f64_e64 v[26:27], v[24:25], -v[10:11]
	s_delay_alu instid0(VALU_DEP_4) | instskip(NEXT) | instid1(VALU_DEP_4)
	v_add_f64_e32 v[10:11], v[54:55], v[28:29]
	v_add_f64_e32 v[24:25], v[52:53], v[30:31]
	v_add_f64_e64 v[28:29], v[54:55], -v[28:29]
	v_add_f64_e64 v[30:31], v[52:53], -v[30:31]
	v_and_b32_e32 v52, 0xffff, v56
	v_lshlrev_b32_e32 v53, 3, v57
	s_delay_alu instid0(VALU_DEP_2) | instskip(NEXT) | instid1(VALU_DEP_1)
	v_mul_u32_u24_e32 v52, 0x210, v52
	v_add3_u32 v52, 0, v52, v53
	ds_store_2addr_b64 v52, v[8:9], v[10:11] offset1:11
	ds_store_2addr_b64 v52, v[24:25], v[26:27] offset0:22 offset1:33
	ds_store_2addr_b64 v52, v[28:29], v[30:31] offset0:44 offset1:55
	global_wb scope:SCOPE_SE
	s_wait_dscnt 0x0
	s_barrier_signal -1
	s_barrier_wait -1
	global_inv scope:SCOPE_SE
	s_and_saveexec_b32 s1, s0
	s_cbranch_execz .LBB0_17
; %bb.16:
	v_add_nc_u32_e32 v0, 0x800, v114
	v_add_nc_u32_e32 v4, 0x1000, v114
	ds_load_2addr_b64 v[8:11], v114 offset1:66
	ds_load_2addr_b64 v[24:27], v114 offset0:132 offset1:198
	ds_load_2addr_b64 v[28:31], v0 offset0:8 offset1:74
	;; [unrolled: 1-line block ×4, first 2 shown]
.LBB0_17:
	s_wait_alu 0xfffe
	s_or_b32 exec_lo, exec_lo, s1
	v_add_f64_e32 v[53:54], v[50:51], v[38:39]
	v_add_f64_e32 v[50:51], v[20:21], v[50:51]
	v_add_f64_e64 v[36:37], v[36:37], -v[40:41]
	v_add_f64_e32 v[22:23], v[22:23], v[34:35]
	v_mul_f64_e32 v[34:35], 0.5, v[48:49]
	v_mul_f64_e32 v[40:41], -0.5, v[42:43]
	global_wb scope:SCOPE_SE
	s_wait_dscnt 0x0
	s_barrier_signal -1
	s_barrier_wait -1
	global_inv scope:SCOPE_SE
	v_fma_f64 v[20:21], v[53:54], -0.5, v[20:21]
	v_add_f64_e32 v[38:39], v[50:51], v[38:39]
	v_add_f64_e32 v[22:23], v[22:23], v[32:33]
	v_fma_f64 v[42:43], v[44:45], s[10:11], v[34:35]
	v_fma_f64 v[40:41], v[46:47], s[10:11], v[40:41]
	;; [unrolled: 1-line block ×4, first 2 shown]
	v_add_f64_e32 v[20:21], v[38:39], v[22:23]
	v_add_f64_e64 v[34:35], v[38:39], -v[22:23]
	s_delay_alu instid0(VALU_DEP_4) | instskip(NEXT) | instid1(VALU_DEP_4)
	v_add_f64_e32 v[22:23], v[44:45], v[42:43]
	v_add_f64_e32 v[32:33], v[46:47], v[40:41]
	v_add_f64_e64 v[36:37], v[44:45], -v[42:43]
	v_add_f64_e64 v[38:39], v[46:47], -v[40:41]
	ds_store_2addr_b64 v52, v[20:21], v[22:23] offset1:11
	ds_store_2addr_b64 v52, v[32:33], v[34:35] offset0:22 offset1:33
	ds_store_2addr_b64 v52, v[36:37], v[38:39] offset0:44 offset1:55
	global_wb scope:SCOPE_SE
	s_wait_dscnt 0x0
	s_barrier_signal -1
	s_barrier_wait -1
	global_inv scope:SCOPE_SE
	s_and_saveexec_b32 s1, s0
	s_cbranch_execnz .LBB0_20
; %bb.18:
	s_wait_alu 0xfffe
	s_or_b32 exec_lo, exec_lo, s1
	s_and_b32 s0, vcc_lo, s0
	s_wait_alu 0xfffe
	s_and_saveexec_b32 s1, s0
	s_cbranch_execnz .LBB0_21
.LBB0_19:
	s_endpgm
.LBB0_20:
	v_add_nc_u32_e32 v12, 0x800, v114
	v_add_nc_u32_e32 v13, 0x1000, v114
	ds_load_2addr_b64 v[20:23], v114 offset1:66
	ds_load_2addr_b64 v[32:35], v114 offset0:132 offset1:198
	ds_load_2addr_b64 v[36:39], v12 offset0:8 offset1:74
	;; [unrolled: 1-line block ×4, first 2 shown]
	s_wait_alu 0xfffe
	s_or_b32 exec_lo, exec_lo, s1
	s_and_b32 s0, vcc_lo, s0
	s_wait_alu 0xfffe
	s_and_saveexec_b32 s1, s0
	s_cbranch_execz .LBB0_19
.LBB0_21:
	v_mul_u32_u24_e32 v40, 9, v116
	s_mov_b32 s12, 0x134454ff
	s_mov_b32 s13, 0xbfee6f0e
	v_mul_lo_u32 v98, s3, v72
	v_mul_lo_u32 v99, s2, v73
	v_lshlrev_b32_e32 v68, 4, v40
	s_mov_b32 s14, 0x4755a5e
	s_mov_b32 s15, 0xbfe2cf23
	;; [unrolled: 1-line block ×3, first 2 shown]
	s_wait_alu 0xfffe
	s_mov_b32 s4, s14
	s_clause 0x8
	global_load_b128 v[40:43], v68, s[8:9] offset:944
	global_load_b128 v[44:47], v68, s[8:9] offset:976
	global_load_b128 v[48:51], v68, s[8:9] offset:912
	global_load_b128 v[52:55], v68, s[8:9] offset:1008
	global_load_b128 v[56:59], v68, s[8:9] offset:880
	global_load_b128 v[60:63], v68, s[8:9] offset:896
	global_load_b128 v[64:67], v68, s[8:9] offset:928
	global_load_b128 v[74:77], v68, s[8:9] offset:992
	global_load_b128 v[78:81], v68, s[8:9] offset:960
	s_mov_b32 s9, 0x3fee6f0e
	s_mov_b32 s8, s12
	v_add_nc_u32_e32 v125, 0x108, v116
	v_add_nc_u32_e32 v127, 0x18c, v116
	s_mov_b32 s0, 0x372fe950
	s_mov_b32 s1, 0x3fd3c6ef
	v_add_nc_u32_e32 v124, 0xc6, v116
	v_add_nc_u32_e32 v126, 0x14a, v116
	v_mad_co_u64_u32 v[92:93], null, s16, v127, 0
	v_add_nc_u32_e32 v128, 0x1ce, v116
	v_add_nc_u32_e32 v129, 0x210, v116
	s_mov_b32 s11, 0xbfd3c6ef
	s_mov_b32 s19, 0x3fe9e377
	s_wait_alu 0xfffe
	s_mov_b32 s10, s0
	v_mad_co_u64_u32 v[96:97], null, s16, v129, 0
	s_wait_loadcnt 0x8
	v_mul_f64_e32 v[68:69], v[30:31], v[42:43]
	s_wait_loadcnt 0x7
	v_mul_f64_e32 v[82:83], v[2:3], v[46:47]
	;; [unrolled: 2-line block ×4, first 2 shown]
	s_wait_dscnt 0x2
	v_mul_f64_e32 v[42:43], v[38:39], v[42:43]
	s_wait_dscnt 0x1
	v_mul_f64_e32 v[46:47], v[18:19], v[46:47]
	v_mul_f64_e32 v[50:51], v[34:35], v[50:51]
	s_wait_dscnt 0x0
	v_mul_f64_e32 v[54:55], v[14:15], v[54:55]
	s_wait_loadcnt 0x4
	v_mul_f64_e32 v[88:89], v[10:11], v[58:59]
	v_mul_f64_e32 v[58:59], v[22:23], v[58:59]
	v_fma_f64 v[38:39], v[38:39], v[40:41], -v[68:69]
	v_fma_f64 v[18:19], v[18:19], v[44:45], -v[82:83]
	v_fma_f64 v[34:35], v[34:35], v[48:49], -v[84:85]
	v_fma_f64 v[14:15], v[14:15], v[52:53], -v[86:87]
	v_fma_f64 v[30:31], v[30:31], v[40:41], v[42:43]
	v_fma_f64 v[2:3], v[2:3], v[44:45], v[46:47]
	s_wait_loadcnt 0x3
	v_mul_f64_e32 v[68:69], v[24:25], v[62:63]
	s_wait_loadcnt 0x2
	v_mul_f64_e32 v[82:83], v[28:29], v[66:67]
	;; [unrolled: 2-line block ×4, first 2 shown]
	v_mul_f64_e32 v[62:63], v[32:33], v[62:63]
	v_mul_f64_e32 v[76:77], v[12:13], v[76:77]
	;; [unrolled: 1-line block ×4, first 2 shown]
	v_fma_f64 v[26:27], v[26:27], v[48:49], v[50:51]
	v_fma_f64 v[6:7], v[6:7], v[52:53], v[54:55]
	v_fma_f64 v[22:23], v[22:23], v[56:57], -v[88:89]
	v_fma_f64 v[10:11], v[10:11], v[56:57], v[58:59]
	v_mad_co_u64_u32 v[44:45], null, s2, v72, 0
	v_lshlrev_b64_e32 v[56:57], 4, v[70:71]
	v_mad_co_u64_u32 v[46:47], null, s16, v116, 0
	s_mov_b32 s2, 0x9b97f4a8
	s_mov_b32 s3, 0xbfe9e377
	s_wait_alu 0xfffe
	s_mov_b32 s18, s2
	s_delay_alu instid0(VALU_DEP_3) | instskip(NEXT) | instid1(VALU_DEP_1)
	v_add3_u32 v45, v45, v99, v98
	v_lshlrev_b64_e32 v[44:45], 4, v[44:45]
	s_delay_alu instid0(VALU_DEP_1)
	v_add_co_u32 v44, vcc_lo, s6, v44
	v_add_f64_e32 v[40:41], v[38:39], v[18:19]
	v_add_f64_e64 v[70:71], v[38:39], -v[18:19]
	v_add_f64_e32 v[42:43], v[34:35], v[14:15]
	v_add_f64_e64 v[72:73], v[34:35], -v[14:15]
	v_add_f64_e32 v[48:49], v[30:31], v[2:3]
	v_fma_f64 v[32:33], v[32:33], v[60:61], -v[68:69]
	v_fma_f64 v[36:37], v[36:37], v[64:65], -v[82:83]
	;; [unrolled: 1-line block ×4, first 2 shown]
	v_fma_f64 v[24:25], v[24:25], v[60:61], v[62:63]
	v_fma_f64 v[4:5], v[4:5], v[74:75], v[76:77]
	;; [unrolled: 1-line block ×4, first 2 shown]
	v_add_f64_e64 v[54:55], v[30:31], -v[2:3]
	v_add_f64_e64 v[50:51], v[26:27], -v[6:7]
	v_add_f64_e32 v[52:53], v[26:27], v[6:7]
	v_add_f64_e64 v[76:77], v[34:35], -v[38:39]
	v_add_f64_e64 v[78:79], v[14:15], -v[18:19]
	v_add_f64_e64 v[84:85], v[38:39], -v[34:35]
	v_add_f64_e64 v[86:87], v[18:19], -v[14:15]
	v_add_f64_e64 v[103:104], v[6:7], -v[2:3]
	v_add_f64_e64 v[107:108], v[30:31], -v[26:27]
	v_add_f64_e64 v[109:110], v[2:3], -v[6:7]
	v_mad_co_u64_u32 v[64:65], null, s16, v125, 0
	v_add_nc_u32_e32 v123, 0x84, v116
	v_mad_co_u64_u32 v[62:63], null, s16, v124, 0
	v_mad_co_u64_u32 v[66:67], null, s16, v126, 0
	s_wait_alu 0xfffd
	v_add_co_ci_u32_e32 v45, vcc_lo, s7, v45, vcc_lo
	v_fma_f64 v[40:41], v[40:41], -0.5, v[22:23]
	v_fma_f64 v[42:43], v[42:43], -0.5, v[22:23]
	v_add_f64_e32 v[22:23], v[34:35], v[22:23]
	v_fma_f64 v[48:49], v[48:49], -0.5, v[10:11]
	v_add_f64_e32 v[113:114], v[20:21], v[32:33]
	v_add_f64_e32 v[74:75], v[32:33], v[12:13]
	;; [unrolled: 1-line block ×5, first 2 shown]
	v_add_f64_e64 v[105:106], v[24:25], -v[4:5]
	v_add_f64_e32 v[80:81], v[28:29], v[0:1]
	v_add_f64_e64 v[111:112], v[28:29], -v[0:1]
	v_add_f64_e64 v[121:122], v[24:25], -v[28:29]
	v_fma_f64 v[52:53], v[52:53], -0.5, v[10:11]
	v_add_f64_e32 v[10:11], v[26:27], v[10:11]
	v_add_f64_e32 v[76:77], v[76:77], v[78:79]
	v_add_f64_e64 v[24:25], v[28:29], -v[24:25]
	v_add_f64_e32 v[84:85], v[84:85], v[86:87]
	v_add_f64_e64 v[117:118], v[12:13], -v[16:17]
	v_add_f64_e64 v[119:120], v[16:17], -v[12:13]
	v_add_f64_e32 v[107:108], v[107:108], v[109:110]
	v_add_f64_e64 v[109:110], v[0:1], -v[4:5]
	v_fma_f64 v[88:89], v[50:51], s[12:13], v[40:41]
	v_fma_f64 v[40:41], v[50:51], s[8:9], v[40:41]
	;; [unrolled: 1-line block ×4, first 2 shown]
	v_mad_co_u64_u32 v[100:101], null, s17, v116, v[47:48]
	v_fma_f64 v[78:79], v[72:73], s[8:9], v[48:49]
	v_fma_f64 v[48:49], v[72:73], s[12:13], v[48:49]
	v_add_f64_e64 v[101:102], v[26:27], -v[30:31]
	v_fma_f64 v[26:27], v[68:69], -0.5, v[20:21]
	v_fma_f64 v[20:21], v[74:75], -0.5, v[20:21]
	v_add_f64_e64 v[68:69], v[36:37], -v[16:17]
	v_add_f64_e64 v[74:75], v[32:33], -v[12:13]
	v_fma_f64 v[80:81], v[80:81], -0.5, v[8:9]
	v_fma_f64 v[8:9], v[82:83], -0.5, v[8:9]
	v_fma_f64 v[82:83], v[70:71], s[12:13], v[52:53]
	v_fma_f64 v[52:53], v[70:71], s[8:9], v[52:53]
	v_add_f64_e32 v[22:23], v[38:39], v[22:23]
	v_add_f64_e32 v[28:29], v[34:35], v[28:29]
	;; [unrolled: 1-line block ×4, first 2 shown]
	v_fma_f64 v[86:87], v[54:55], s[14:15], v[88:89]
	v_fma_f64 v[40:41], v[54:55], s[4:5], v[40:41]
	v_mov_b32_e32 v54, v65
	v_fma_f64 v[88:89], v[50:51], s[14:15], v[90:91]
	v_fma_f64 v[42:43], v[50:51], s[4:5], v[42:43]
	v_mad_co_u64_u32 v[60:61], null, s16, v123, 0
	v_add_nc_u32_e32 v115, 0x42, v116
	v_add_f64_e32 v[101:102], v[101:102], v[103:104]
	v_add_f64_e64 v[103:104], v[4:5], -v[0:1]
	v_fma_f64 v[30:31], v[105:106], s[12:13], v[26:27]
	v_fma_f64 v[34:35], v[111:112], s[8:9], v[20:21]
	;; [unrolled: 1-line block ×3, first 2 shown]
	v_mov_b32_e32 v50, v61
	v_mad_co_u64_u32 v[58:59], null, s16, v115, 0
	v_fma_f64 v[38:39], v[74:75], s[8:9], v[80:81]
	v_fma_f64 v[78:79], v[70:71], s[4:5], v[78:79]
	;; [unrolled: 1-line block ×6, first 2 shown]
	v_mov_b32_e32 v47, v59
	v_mov_b32_e32 v59, v93
	v_mad_co_u64_u32 v[94:95], null, s16, v128, 0
	v_add_nc_u32_e32 v130, 0x252, v116
	s_delay_alu instid0(VALU_DEP_4)
	v_mad_co_u64_u32 v[90:91], null, s17, v115, v[47:48]
	v_add_f64_e64 v[115:116], v[32:33], -v[36:37]
	v_add_f64_e64 v[32:33], v[36:37], -v[32:33]
	v_add_f64_e32 v[36:37], v[113:114], v[36:37]
	v_mov_b32_e32 v61, v95
	v_fma_f64 v[113:114], v[68:69], s[12:13], v[8:9]
	v_fma_f64 v[8:9], v[68:69], s[8:9], v[8:9]
	;; [unrolled: 1-line block ×3, first 2 shown]
	v_mov_b32_e32 v51, v63
	v_mov_b32_e32 v55, v67
	v_fma_f64 v[72:73], v[76:77], s[0:1], v[86:87]
	v_fma_f64 v[40:41], v[76:77], s[0:1], v[40:41]
	v_mov_b32_e32 v47, v97
	v_fma_f64 v[86:87], v[84:85], s[0:1], v[88:89]
	v_fma_f64 v[42:43], v[84:85], s[0:1], v[42:43]
	v_add_f64_e32 v[18:19], v[18:19], v[22:23]
	v_add_f64_e32 v[0:1], v[28:29], v[0:1]
	;; [unrolled: 1-line block ×3, first 2 shown]
	v_mad_co_u64_u32 v[70:71], null, s17, v123, v[50:51]
	v_mad_co_u64_u32 v[76:77], null, s17, v125, v[54:55]
	v_add_f64_e32 v[103:104], v[121:122], v[103:104]
	v_fma_f64 v[10:11], v[111:112], s[14:15], v[30:31]
	v_fma_f64 v[22:23], v[105:106], s[14:15], v[34:35]
	;; [unrolled: 1-line block ×5, first 2 shown]
	v_mad_co_u64_u32 v[98:99], null, s16, v130, 0
	v_mad_co_u64_u32 v[50:51], null, s17, v124, v[51:52]
	v_fma_f64 v[68:69], v[68:69], s[14:15], v[80:81]
	v_fma_f64 v[20:21], v[105:106], s[4:5], v[20:21]
	;; [unrolled: 1-line block ×3, first 2 shown]
	v_mad_co_u64_u32 v[84:85], null, s17, v127, v[59:60]
	v_mov_b32_e32 v63, v99
	v_mad_co_u64_u32 v[54:55], null, s17, v126, v[55:56]
	v_add_f64_e32 v[115:116], v[115:116], v[117:118]
	v_add_f64_e32 v[16:17], v[36:37], v[16:17]
	v_fma_f64 v[36:37], v[107:108], s[0:1], v[82:83]
	v_fma_f64 v[30:31], v[74:75], s[4:5], v[113:114]
	v_fma_f64 v[8:9], v[74:75], s[14:15], v[8:9]
	v_mad_co_u64_u32 v[123:124], null, s17, v129, v[47:48]
	v_fma_f64 v[48:49], v[101:102], s[0:1], v[48:49]
	v_add_f64_e32 v[32:33], v[32:33], v[119:120]
	s_wait_alu 0xfffe
	v_mul_f64_e32 v[79:80], s[18:19], v[40:41]
	v_mul_f64_e32 v[40:41], s[14:15], v[40:41]
	;; [unrolled: 1-line block ×8, first 2 shown]
	v_mov_b32_e32 v47, v100
	v_mad_co_u64_u32 v[85:86], null, s17, v130, v[63:64]
	v_add_f64_e32 v[14:15], v[14:15], v[18:19]
	v_add_f64_e32 v[4:5], v[4:5], v[0:1]
	v_add_co_u32 v86, vcc_lo, v44, v56
	v_mov_b32_e32 v93, v84
	v_fma_f64 v[83:84], v[103:104], s[0:1], v[28:29]
	v_mov_b32_e32 v63, v50
	v_mov_b32_e32 v67, v54
	v_mad_co_u64_u32 v[88:89], null, s17, v128, v[61:62]
	v_fma_f64 v[68:69], v[103:104], s[0:1], v[68:69]
	s_wait_alu 0xfffd
	v_add_co_ci_u32_e32 v87, vcc_lo, v45, v57, vcc_lo
	v_lshlrev_b64_e32 v[44:45], 4, v[46:47]
	v_mov_b32_e32 v61, v70
	v_mov_b32_e32 v59, v90
	v_mov_b32_e32 v65, v76
	v_mov_b32_e32 v95, v88
	v_fma_f64 v[55:56], v[115:116], s[0:1], v[26:27]
	v_add_f64_e32 v[12:13], v[12:13], v[16:17]
	v_add_f64_e32 v[16:17], v[6:7], v[2:3]
	v_fma_f64 v[46:47], v[115:116], s[0:1], v[10:11]
	v_fma_f64 v[8:9], v[24:25], s[0:1], v[8:9]
	v_lshlrev_b64_e32 v[0:1], 4, v[58:59]
	v_lshlrev_b64_e32 v[2:3], 4, v[60:61]
	v_add_co_u32 v44, vcc_lo, v86, v44
	v_fma_f64 v[20:21], v[32:33], s[0:1], v[20:21]
	v_fma_f64 v[40:41], v[48:49], s[18:19], v[40:41]
	;; [unrolled: 1-line block ×11, first 2 shown]
	s_wait_alu 0xfffd
	v_add_co_ci_u32_e32 v45, vcc_lo, v87, v45, vcc_lo
	v_add_co_u32 v79, vcc_lo, v86, v0
	s_wait_alu 0xfffd
	v_add_co_ci_u32_e32 v80, vcc_lo, v87, v1, vcc_lo
	v_add_co_u32 v81, vcc_lo, v86, v2
	s_wait_alu 0xfffd
	v_add_co_ci_u32_e32 v82, vcc_lo, v87, v3, vcc_lo
	v_lshlrev_b64_e32 v[57:58], 4, v[62:63]
	v_lshlrev_b64_e32 v[59:60], 4, v[64:65]
	;; [unrolled: 1-line block ×4, first 2 shown]
	v_mov_b32_e32 v97, v123
	v_lshlrev_b64_e32 v[65:66], 4, v[94:95]
	v_mov_b32_e32 v99, v85
	v_add_f64_e32 v[6:7], v[12:13], v[14:15]
	v_add_f64_e64 v[0:1], v[4:5], -v[16:17]
	v_add_f64_e32 v[4:5], v[4:5], v[16:17]
	v_add_f64_e64 v[2:3], v[12:13], -v[14:15]
	v_lshlrev_b64_e32 v[75:76], 4, v[96:97]
	v_lshlrev_b64_e32 v[77:78], 4, v[98:99]
	v_add_f64_e32 v[32:33], v[68:69], v[40:41]
	v_add_f64_e64 v[36:37], v[68:69], -v[40:41]
	v_add_f64_e32 v[34:35], v[55:56], v[73:74]
	v_add_f64_e64 v[18:19], v[20:21], -v[28:29]
	v_add_f64_e32 v[30:31], v[20:21], v[28:29]
	v_add_f64_e32 v[28:29], v[8:9], v[42:43]
	v_add_f64_e64 v[14:15], v[53:54], -v[26:27]
	v_add_f64_e32 v[26:27], v[53:54], v[26:27]
	;; [unrolled: 3-line block ×3, first 2 shown]
	v_add_f64_e32 v[20:21], v[83:84], v[70:71]
	v_add_f64_e64 v[38:39], v[55:56], -v[73:74]
	v_add_f64_e64 v[16:17], v[8:9], -v[42:43]
	;; [unrolled: 1-line block ×4, first 2 shown]
	v_add_co_u32 v40, vcc_lo, v86, v57
	s_wait_alu 0xfffd
	v_add_co_ci_u32_e32 v41, vcc_lo, v87, v58, vcc_lo
	v_add_co_u32 v42, vcc_lo, v86, v59
	s_wait_alu 0xfffd
	v_add_co_ci_u32_e32 v43, vcc_lo, v87, v60, vcc_lo
	;; [unrolled: 3-line block ×7, first 2 shown]
	s_clause 0x9
	global_store_b128 v[44:45], v[4:7], off
	global_store_b128 v[79:80], v[32:35], off
	;; [unrolled: 1-line block ×10, first 2 shown]
	s_nop 0
	s_sendmsg sendmsg(MSG_DEALLOC_VGPRS)
	s_endpgm
	.section	.rodata,"a",@progbits
	.p2align	6, 0x0
	.amdhsa_kernel fft_rtc_back_len660_factors_11_6_10_wgs_110_tpt_110_halfLds_dp_op_CI_CI_sbrr_dirReg
		.amdhsa_group_segment_fixed_size 0
		.amdhsa_private_segment_fixed_size 0
		.amdhsa_kernarg_size 104
		.amdhsa_user_sgpr_count 2
		.amdhsa_user_sgpr_dispatch_ptr 0
		.amdhsa_user_sgpr_queue_ptr 0
		.amdhsa_user_sgpr_kernarg_segment_ptr 1
		.amdhsa_user_sgpr_dispatch_id 0
		.amdhsa_user_sgpr_private_segment_size 0
		.amdhsa_wavefront_size32 1
		.amdhsa_uses_dynamic_stack 0
		.amdhsa_enable_private_segment 0
		.amdhsa_system_sgpr_workgroup_id_x 1
		.amdhsa_system_sgpr_workgroup_id_y 0
		.amdhsa_system_sgpr_workgroup_id_z 0
		.amdhsa_system_sgpr_workgroup_info 0
		.amdhsa_system_vgpr_workitem_id 0
		.amdhsa_next_free_vgpr 135
		.amdhsa_next_free_sgpr 44
		.amdhsa_reserve_vcc 1
		.amdhsa_float_round_mode_32 0
		.amdhsa_float_round_mode_16_64 0
		.amdhsa_float_denorm_mode_32 3
		.amdhsa_float_denorm_mode_16_64 3
		.amdhsa_fp16_overflow 0
		.amdhsa_workgroup_processor_mode 1
		.amdhsa_memory_ordered 1
		.amdhsa_forward_progress 0
		.amdhsa_round_robin_scheduling 0
		.amdhsa_exception_fp_ieee_invalid_op 0
		.amdhsa_exception_fp_denorm_src 0
		.amdhsa_exception_fp_ieee_div_zero 0
		.amdhsa_exception_fp_ieee_overflow 0
		.amdhsa_exception_fp_ieee_underflow 0
		.amdhsa_exception_fp_ieee_inexact 0
		.amdhsa_exception_int_div_zero 0
	.end_amdhsa_kernel
	.text
.Lfunc_end0:
	.size	fft_rtc_back_len660_factors_11_6_10_wgs_110_tpt_110_halfLds_dp_op_CI_CI_sbrr_dirReg, .Lfunc_end0-fft_rtc_back_len660_factors_11_6_10_wgs_110_tpt_110_halfLds_dp_op_CI_CI_sbrr_dirReg
                                        ; -- End function
	.section	.AMDGPU.csdata,"",@progbits
; Kernel info:
; codeLenInByte = 8048
; NumSgprs: 46
; NumVgprs: 135
; ScratchSize: 0
; MemoryBound: 1
; FloatMode: 240
; IeeeMode: 1
; LDSByteSize: 0 bytes/workgroup (compile time only)
; SGPRBlocks: 5
; VGPRBlocks: 16
; NumSGPRsForWavesPerEU: 46
; NumVGPRsForWavesPerEU: 135
; Occupancy: 10
; WaveLimiterHint : 1
; COMPUTE_PGM_RSRC2:SCRATCH_EN: 0
; COMPUTE_PGM_RSRC2:USER_SGPR: 2
; COMPUTE_PGM_RSRC2:TRAP_HANDLER: 0
; COMPUTE_PGM_RSRC2:TGID_X_EN: 1
; COMPUTE_PGM_RSRC2:TGID_Y_EN: 0
; COMPUTE_PGM_RSRC2:TGID_Z_EN: 0
; COMPUTE_PGM_RSRC2:TIDIG_COMP_CNT: 0
	.text
	.p2alignl 7, 3214868480
	.fill 96, 4, 3214868480
	.type	__hip_cuid_39134974720de40f,@object ; @__hip_cuid_39134974720de40f
	.section	.bss,"aw",@nobits
	.globl	__hip_cuid_39134974720de40f
__hip_cuid_39134974720de40f:
	.byte	0                               ; 0x0
	.size	__hip_cuid_39134974720de40f, 1

	.ident	"AMD clang version 19.0.0git (https://github.com/RadeonOpenCompute/llvm-project roc-6.4.0 25133 c7fe45cf4b819c5991fe208aaa96edf142730f1d)"
	.section	".note.GNU-stack","",@progbits
	.addrsig
	.addrsig_sym __hip_cuid_39134974720de40f
	.amdgpu_metadata
---
amdhsa.kernels:
  - .args:
      - .actual_access:  read_only
        .address_space:  global
        .offset:         0
        .size:           8
        .value_kind:     global_buffer
      - .offset:         8
        .size:           8
        .value_kind:     by_value
      - .actual_access:  read_only
        .address_space:  global
        .offset:         16
        .size:           8
        .value_kind:     global_buffer
      - .actual_access:  read_only
        .address_space:  global
        .offset:         24
        .size:           8
        .value_kind:     global_buffer
      - .actual_access:  read_only
        .address_space:  global
        .offset:         32
        .size:           8
        .value_kind:     global_buffer
      - .offset:         40
        .size:           8
        .value_kind:     by_value
      - .actual_access:  read_only
        .address_space:  global
        .offset:         48
        .size:           8
        .value_kind:     global_buffer
      - .actual_access:  read_only
        .address_space:  global
        .offset:         56
        .size:           8
        .value_kind:     global_buffer
      - .offset:         64
        .size:           4
        .value_kind:     by_value
      - .actual_access:  read_only
        .address_space:  global
        .offset:         72
        .size:           8
        .value_kind:     global_buffer
      - .actual_access:  read_only
        .address_space:  global
        .offset:         80
        .size:           8
        .value_kind:     global_buffer
      - .actual_access:  read_only
        .address_space:  global
        .offset:         88
        .size:           8
        .value_kind:     global_buffer
      - .actual_access:  write_only
        .address_space:  global
        .offset:         96
        .size:           8
        .value_kind:     global_buffer
    .group_segment_fixed_size: 0
    .kernarg_segment_align: 8
    .kernarg_segment_size: 104
    .language:       OpenCL C
    .language_version:
      - 2
      - 0
    .max_flat_workgroup_size: 110
    .name:           fft_rtc_back_len660_factors_11_6_10_wgs_110_tpt_110_halfLds_dp_op_CI_CI_sbrr_dirReg
    .private_segment_fixed_size: 0
    .sgpr_count:     46
    .sgpr_spill_count: 0
    .symbol:         fft_rtc_back_len660_factors_11_6_10_wgs_110_tpt_110_halfLds_dp_op_CI_CI_sbrr_dirReg.kd
    .uniform_work_group_size: 1
    .uses_dynamic_stack: false
    .vgpr_count:     135
    .vgpr_spill_count: 0
    .wavefront_size: 32
    .workgroup_processor_mode: 1
amdhsa.target:   amdgcn-amd-amdhsa--gfx1201
amdhsa.version:
  - 1
  - 2
...

	.end_amdgpu_metadata
